;; amdgpu-corpus repo=ROCm/rocFFT kind=compiled arch=gfx1201 opt=O3
	.text
	.amdgcn_target "amdgcn-amd-amdhsa--gfx1201"
	.amdhsa_code_object_version 6
	.protected	fft_rtc_fwd_len1848_factors_3_11_7_4_2_wgs_231_tpt_231_halfLds_half_ip_CI_unitstride_sbrr_R2C_dirReg ; -- Begin function fft_rtc_fwd_len1848_factors_3_11_7_4_2_wgs_231_tpt_231_halfLds_half_ip_CI_unitstride_sbrr_R2C_dirReg
	.globl	fft_rtc_fwd_len1848_factors_3_11_7_4_2_wgs_231_tpt_231_halfLds_half_ip_CI_unitstride_sbrr_R2C_dirReg
	.p2align	8
	.type	fft_rtc_fwd_len1848_factors_3_11_7_4_2_wgs_231_tpt_231_halfLds_half_ip_CI_unitstride_sbrr_R2C_dirReg,@function
fft_rtc_fwd_len1848_factors_3_11_7_4_2_wgs_231_tpt_231_halfLds_half_ip_CI_unitstride_sbrr_R2C_dirReg: ; @fft_rtc_fwd_len1848_factors_3_11_7_4_2_wgs_231_tpt_231_halfLds_half_ip_CI_unitstride_sbrr_R2C_dirReg
; %bb.0:
	s_clause 0x2
	s_load_b128 s[4:7], s[0:1], 0x0
	s_load_b64 s[8:9], s[0:1], 0x50
	s_load_b64 s[10:11], s[0:1], 0x18
	v_mul_u32_u24_e32 v1, 0x11c, v0
	v_mov_b32_e32 v3, 0
	s_delay_alu instid0(VALU_DEP_2) | instskip(NEXT) | instid1(VALU_DEP_1)
	v_lshrrev_b32_e32 v1, 16, v1
	v_add_nc_u32_e32 v5, ttmp9, v1
	v_mov_b32_e32 v1, 0
	v_mov_b32_e32 v2, 0
	;; [unrolled: 1-line block ×3, first 2 shown]
	s_wait_kmcnt 0x0
	v_cmp_lt_u64_e64 s2, s[6:7], 2
	s_delay_alu instid0(VALU_DEP_1)
	s_and_b32 vcc_lo, exec_lo, s2
	s_cbranch_vccnz .LBB0_8
; %bb.1:
	s_load_b64 s[2:3], s[0:1], 0x10
	v_mov_b32_e32 v1, 0
	v_mov_b32_e32 v2, 0
	s_add_nc_u64 s[12:13], s[10:11], 8
	s_mov_b64 s[14:15], 1
	s_wait_kmcnt 0x0
	s_add_nc_u64 s[16:17], s[2:3], 8
	s_mov_b32 s3, 0
.LBB0_2:                                ; =>This Inner Loop Header: Depth=1
	s_load_b64 s[18:19], s[16:17], 0x0
                                        ; implicit-def: $vgpr7_vgpr8
	s_mov_b32 s2, exec_lo
	s_wait_kmcnt 0x0
	v_or_b32_e32 v4, s19, v6
	s_delay_alu instid0(VALU_DEP_1)
	v_cmpx_ne_u64_e32 0, v[3:4]
	s_wait_alu 0xfffe
	s_xor_b32 s20, exec_lo, s2
	s_cbranch_execz .LBB0_4
; %bb.3:                                ;   in Loop: Header=BB0_2 Depth=1
	s_cvt_f32_u32 s2, s18
	s_cvt_f32_u32 s21, s19
	s_sub_nc_u64 s[24:25], 0, s[18:19]
	s_wait_alu 0xfffe
	s_delay_alu instid0(SALU_CYCLE_1) | instskip(SKIP_1) | instid1(SALU_CYCLE_2)
	s_fmamk_f32 s2, s21, 0x4f800000, s2
	s_wait_alu 0xfffe
	v_s_rcp_f32 s2, s2
	s_delay_alu instid0(TRANS32_DEP_1) | instskip(SKIP_1) | instid1(SALU_CYCLE_2)
	s_mul_f32 s2, s2, 0x5f7ffffc
	s_wait_alu 0xfffe
	s_mul_f32 s21, s2, 0x2f800000
	s_wait_alu 0xfffe
	s_delay_alu instid0(SALU_CYCLE_2) | instskip(SKIP_1) | instid1(SALU_CYCLE_2)
	s_trunc_f32 s21, s21
	s_wait_alu 0xfffe
	s_fmamk_f32 s2, s21, 0xcf800000, s2
	s_cvt_u32_f32 s23, s21
	s_wait_alu 0xfffe
	s_delay_alu instid0(SALU_CYCLE_1) | instskip(SKIP_1) | instid1(SALU_CYCLE_2)
	s_cvt_u32_f32 s22, s2
	s_wait_alu 0xfffe
	s_mul_u64 s[26:27], s[24:25], s[22:23]
	s_wait_alu 0xfffe
	s_mul_hi_u32 s29, s22, s27
	s_mul_i32 s28, s22, s27
	s_mul_hi_u32 s2, s22, s26
	s_mul_i32 s30, s23, s26
	s_wait_alu 0xfffe
	s_add_nc_u64 s[28:29], s[2:3], s[28:29]
	s_mul_hi_u32 s21, s23, s26
	s_mul_hi_u32 s31, s23, s27
	s_add_co_u32 s2, s28, s30
	s_wait_alu 0xfffe
	s_add_co_ci_u32 s2, s29, s21
	s_mul_i32 s26, s23, s27
	s_add_co_ci_u32 s27, s31, 0
	s_wait_alu 0xfffe
	s_add_nc_u64 s[26:27], s[2:3], s[26:27]
	s_wait_alu 0xfffe
	v_add_co_u32 v4, s2, s22, s26
	s_delay_alu instid0(VALU_DEP_1) | instskip(SKIP_1) | instid1(VALU_DEP_1)
	s_cmp_lg_u32 s2, 0
	s_add_co_ci_u32 s23, s23, s27
	v_readfirstlane_b32 s22, v4
	s_wait_alu 0xfffe
	s_delay_alu instid0(VALU_DEP_1)
	s_mul_u64 s[24:25], s[24:25], s[22:23]
	s_wait_alu 0xfffe
	s_mul_hi_u32 s27, s22, s25
	s_mul_i32 s26, s22, s25
	s_mul_hi_u32 s2, s22, s24
	s_mul_i32 s28, s23, s24
	s_wait_alu 0xfffe
	s_add_nc_u64 s[26:27], s[2:3], s[26:27]
	s_mul_hi_u32 s21, s23, s24
	s_mul_hi_u32 s22, s23, s25
	s_wait_alu 0xfffe
	s_add_co_u32 s2, s26, s28
	s_add_co_ci_u32 s2, s27, s21
	s_mul_i32 s24, s23, s25
	s_add_co_ci_u32 s25, s22, 0
	s_wait_alu 0xfffe
	s_add_nc_u64 s[24:25], s[2:3], s[24:25]
	s_wait_alu 0xfffe
	v_add_co_u32 v4, s2, v4, s24
	s_delay_alu instid0(VALU_DEP_1) | instskip(SKIP_1) | instid1(VALU_DEP_1)
	s_cmp_lg_u32 s2, 0
	s_add_co_ci_u32 s2, s23, s25
	v_mul_hi_u32 v13, v5, v4
	s_wait_alu 0xfffe
	v_mad_co_u64_u32 v[7:8], null, v5, s2, 0
	v_mad_co_u64_u32 v[9:10], null, v6, v4, 0
	;; [unrolled: 1-line block ×3, first 2 shown]
	s_delay_alu instid0(VALU_DEP_3) | instskip(SKIP_1) | instid1(VALU_DEP_4)
	v_add_co_u32 v4, vcc_lo, v13, v7
	s_wait_alu 0xfffd
	v_add_co_ci_u32_e32 v7, vcc_lo, 0, v8, vcc_lo
	s_delay_alu instid0(VALU_DEP_2) | instskip(SKIP_1) | instid1(VALU_DEP_2)
	v_add_co_u32 v4, vcc_lo, v4, v9
	s_wait_alu 0xfffd
	v_add_co_ci_u32_e32 v4, vcc_lo, v7, v10, vcc_lo
	s_wait_alu 0xfffd
	v_add_co_ci_u32_e32 v7, vcc_lo, 0, v12, vcc_lo
	s_delay_alu instid0(VALU_DEP_2) | instskip(SKIP_1) | instid1(VALU_DEP_2)
	v_add_co_u32 v4, vcc_lo, v4, v11
	s_wait_alu 0xfffd
	v_add_co_ci_u32_e32 v9, vcc_lo, 0, v7, vcc_lo
	s_delay_alu instid0(VALU_DEP_2) | instskip(SKIP_1) | instid1(VALU_DEP_3)
	v_mul_lo_u32 v10, s19, v4
	v_mad_co_u64_u32 v[7:8], null, s18, v4, 0
	v_mul_lo_u32 v11, s18, v9
	s_delay_alu instid0(VALU_DEP_2) | instskip(NEXT) | instid1(VALU_DEP_2)
	v_sub_co_u32 v7, vcc_lo, v5, v7
	v_add3_u32 v8, v8, v11, v10
	s_delay_alu instid0(VALU_DEP_1) | instskip(SKIP_1) | instid1(VALU_DEP_1)
	v_sub_nc_u32_e32 v10, v6, v8
	s_wait_alu 0xfffd
	v_subrev_co_ci_u32_e64 v10, s2, s19, v10, vcc_lo
	v_add_co_u32 v11, s2, v4, 2
	s_wait_alu 0xf1ff
	v_add_co_ci_u32_e64 v12, s2, 0, v9, s2
	v_sub_co_u32 v13, s2, v7, s18
	v_sub_co_ci_u32_e32 v8, vcc_lo, v6, v8, vcc_lo
	s_wait_alu 0xf1ff
	v_subrev_co_ci_u32_e64 v10, s2, 0, v10, s2
	s_delay_alu instid0(VALU_DEP_3) | instskip(NEXT) | instid1(VALU_DEP_3)
	v_cmp_le_u32_e32 vcc_lo, s18, v13
	v_cmp_eq_u32_e64 s2, s19, v8
	s_wait_alu 0xfffd
	v_cndmask_b32_e64 v13, 0, -1, vcc_lo
	v_cmp_le_u32_e32 vcc_lo, s19, v10
	s_wait_alu 0xfffd
	v_cndmask_b32_e64 v14, 0, -1, vcc_lo
	v_cmp_le_u32_e32 vcc_lo, s18, v7
	;; [unrolled: 3-line block ×3, first 2 shown]
	s_wait_alu 0xfffd
	v_cndmask_b32_e64 v15, 0, -1, vcc_lo
	v_cmp_eq_u32_e32 vcc_lo, s19, v10
	s_wait_alu 0xf1ff
	s_delay_alu instid0(VALU_DEP_2)
	v_cndmask_b32_e64 v7, v15, v7, s2
	s_wait_alu 0xfffd
	v_cndmask_b32_e32 v10, v14, v13, vcc_lo
	v_add_co_u32 v13, vcc_lo, v4, 1
	s_wait_alu 0xfffd
	v_add_co_ci_u32_e32 v14, vcc_lo, 0, v9, vcc_lo
	s_delay_alu instid0(VALU_DEP_3) | instskip(SKIP_2) | instid1(VALU_DEP_3)
	v_cmp_ne_u32_e32 vcc_lo, 0, v10
	s_wait_alu 0xfffd
	v_cndmask_b32_e32 v10, v13, v11, vcc_lo
	v_cndmask_b32_e32 v8, v14, v12, vcc_lo
	v_cmp_ne_u32_e32 vcc_lo, 0, v7
	s_wait_alu 0xfffd
	s_delay_alu instid0(VALU_DEP_2)
	v_dual_cndmask_b32 v7, v4, v10 :: v_dual_cndmask_b32 v8, v9, v8
.LBB0_4:                                ;   in Loop: Header=BB0_2 Depth=1
	s_wait_alu 0xfffe
	s_and_not1_saveexec_b32 s2, s20
	s_cbranch_execz .LBB0_6
; %bb.5:                                ;   in Loop: Header=BB0_2 Depth=1
	v_cvt_f32_u32_e32 v4, s18
	s_sub_co_i32 s20, 0, s18
	s_delay_alu instid0(VALU_DEP_1) | instskip(NEXT) | instid1(TRANS32_DEP_1)
	v_rcp_iflag_f32_e32 v4, v4
	v_mul_f32_e32 v4, 0x4f7ffffe, v4
	s_delay_alu instid0(VALU_DEP_1) | instskip(SKIP_1) | instid1(VALU_DEP_1)
	v_cvt_u32_f32_e32 v4, v4
	s_wait_alu 0xfffe
	v_mul_lo_u32 v7, s20, v4
	s_delay_alu instid0(VALU_DEP_1) | instskip(NEXT) | instid1(VALU_DEP_1)
	v_mul_hi_u32 v7, v4, v7
	v_add_nc_u32_e32 v4, v4, v7
	s_delay_alu instid0(VALU_DEP_1) | instskip(NEXT) | instid1(VALU_DEP_1)
	v_mul_hi_u32 v4, v5, v4
	v_mul_lo_u32 v7, v4, s18
	v_add_nc_u32_e32 v8, 1, v4
	s_delay_alu instid0(VALU_DEP_2) | instskip(NEXT) | instid1(VALU_DEP_1)
	v_sub_nc_u32_e32 v7, v5, v7
	v_subrev_nc_u32_e32 v9, s18, v7
	v_cmp_le_u32_e32 vcc_lo, s18, v7
	s_wait_alu 0xfffd
	s_delay_alu instid0(VALU_DEP_2) | instskip(NEXT) | instid1(VALU_DEP_1)
	v_dual_cndmask_b32 v7, v7, v9 :: v_dual_cndmask_b32 v4, v4, v8
	v_cmp_le_u32_e32 vcc_lo, s18, v7
	s_delay_alu instid0(VALU_DEP_2) | instskip(SKIP_1) | instid1(VALU_DEP_1)
	v_add_nc_u32_e32 v8, 1, v4
	s_wait_alu 0xfffd
	v_dual_cndmask_b32 v7, v4, v8 :: v_dual_mov_b32 v8, v3
.LBB0_6:                                ;   in Loop: Header=BB0_2 Depth=1
	s_wait_alu 0xfffe
	s_or_b32 exec_lo, exec_lo, s2
	s_load_b64 s[20:21], s[12:13], 0x0
	s_delay_alu instid0(VALU_DEP_1)
	v_mul_lo_u32 v4, v8, s18
	v_mul_lo_u32 v11, v7, s19
	v_mad_co_u64_u32 v[9:10], null, v7, s18, 0
	s_add_nc_u64 s[14:15], s[14:15], 1
	s_add_nc_u64 s[12:13], s[12:13], 8
	s_wait_alu 0xfffe
	v_cmp_ge_u64_e64 s2, s[14:15], s[6:7]
	s_add_nc_u64 s[16:17], s[16:17], 8
	s_delay_alu instid0(VALU_DEP_2) | instskip(NEXT) | instid1(VALU_DEP_3)
	v_add3_u32 v4, v10, v11, v4
	v_sub_co_u32 v5, vcc_lo, v5, v9
	s_wait_alu 0xfffd
	s_delay_alu instid0(VALU_DEP_2) | instskip(SKIP_3) | instid1(VALU_DEP_2)
	v_sub_co_ci_u32_e32 v4, vcc_lo, v6, v4, vcc_lo
	s_and_b32 vcc_lo, exec_lo, s2
	s_wait_kmcnt 0x0
	v_mul_lo_u32 v6, s21, v5
	v_mul_lo_u32 v4, s20, v4
	v_mad_co_u64_u32 v[1:2], null, s20, v5, v[1:2]
	s_delay_alu instid0(VALU_DEP_1)
	v_add3_u32 v2, v6, v2, v4
	s_wait_alu 0xfffe
	s_cbranch_vccnz .LBB0_9
; %bb.7:                                ;   in Loop: Header=BB0_2 Depth=1
	v_dual_mov_b32 v5, v7 :: v_dual_mov_b32 v6, v8
	s_branch .LBB0_2
.LBB0_8:
	v_dual_mov_b32 v8, v6 :: v_dual_mov_b32 v7, v5
.LBB0_9:
	s_lshl_b64 s[2:3], s[6:7], 3
	v_mul_hi_u32 v3, 0x11bb4a5, v0
	s_wait_alu 0xfffe
	s_add_nc_u64 s[2:3], s[10:11], s[2:3]
	s_load_b64 s[2:3], s[2:3], 0x0
	s_load_b64 s[0:1], s[0:1], 0x20
	s_delay_alu instid0(VALU_DEP_1) | instskip(NEXT) | instid1(VALU_DEP_1)
	v_mul_u32_u24_e32 v3, 0xe7, v3
	v_sub_nc_u32_e32 v0, v0, v3
	s_delay_alu instid0(VALU_DEP_1)
	v_add_nc_u32_e32 v4, 0xe7, v0
	s_wait_kmcnt 0x0
	v_mul_lo_u32 v5, s2, v8
	v_mul_lo_u32 v6, s3, v7
	v_mad_co_u64_u32 v[1:2], null, s2, v7, v[1:2]
	v_cmp_gt_u64_e32 vcc_lo, s[0:1], v[7:8]
	v_cmp_le_u64_e64 s0, s[0:1], v[7:8]
	s_delay_alu instid0(VALU_DEP_3) | instskip(SKIP_1) | instid1(VALU_DEP_3)
	v_add3_u32 v2, v6, v2, v5
	v_add_nc_u32_e32 v6, 0x1ce, v0
	s_and_saveexec_b32 s1, s0
	s_wait_alu 0xfffe
	s_xor_b32 s0, exec_lo, s1
; %bb.10:
	v_add_nc_u32_e32 v4, 0xe7, v0
	v_add_nc_u32_e32 v6, 0x1ce, v0
; %bb.11:
	s_wait_alu 0xfffe
	s_or_saveexec_b32 s1, s0
	v_lshlrev_b64_e32 v[2:3], 2, v[1:2]
	v_lshl_add_u32 v17, v0, 2, 0
	s_wait_alu 0xfffe
	s_xor_b32 exec_lo, exec_lo, s1
	s_cbranch_execz .LBB0_13
; %bb.12:
	s_delay_alu instid0(VALU_DEP_1) | instskip(SKIP_1) | instid1(VALU_DEP_2)
	v_dual_mov_b32 v1, 0 :: v_dual_add_nc_u32 v14, 0xe40, v17
	v_add_nc_u32_e32 v15, 0x1580, v17
	v_lshlrev_b64_e32 v[7:8], 2, v[0:1]
	v_add_co_u32 v1, s0, s8, v2
	s_wait_alu 0xf1ff
	v_add_co_ci_u32_e64 v5, s0, s9, v3, s0
	s_delay_alu instid0(VALU_DEP_2) | instskip(SKIP_1) | instid1(VALU_DEP_2)
	v_add_co_u32 v7, s0, v1, v7
	s_wait_alu 0xf1ff
	v_add_co_ci_u32_e64 v8, s0, v5, v8, s0
	s_clause 0x7
	global_load_b32 v1, v[7:8], off
	global_load_b32 v5, v[7:8], off offset:924
	global_load_b32 v9, v[7:8], off offset:1848
	;; [unrolled: 1-line block ×7, first 2 shown]
	v_add_nc_u32_e32 v8, 0x700, v17
	s_wait_loadcnt 0x6
	ds_store_2addr_b32 v17, v1, v5 offset1:231
	s_wait_loadcnt 0x4
	ds_store_2addr_b32 v8, v9, v10 offset0:14 offset1:245
	s_wait_loadcnt 0x2
	ds_store_2addr_b32 v14, v11, v12 offset0:12 offset1:243
	;; [unrolled: 2-line block ×3, first 2 shown]
.LBB0_13:
	s_or_b32 exec_lo, exec_lo, s1
	v_add_nc_u32_e32 v1, 0x600, v17
	v_add_nc_u32_e32 v5, 0xd00, v17
	global_wb scope:SCOPE_SE
	s_wait_dscnt 0x0
	s_barrier_signal -1
	s_barrier_wait -1
	global_inv scope:SCOPE_SE
	ds_load_2addr_b32 v[8:9], v17 offset1:231
	ds_load_2addr_b32 v[10:11], v1 offset0:78 offset1:232
	v_add_nc_u32_e32 v1, 0x1300, v17
	ds_load_2addr_b32 v[12:13], v5 offset0:15 offset1:246
	ds_load_b32 v5, v17 offset:6776
	ds_load_2addr_b32 v[14:15], v1 offset0:16 offset1:247
	v_lshl_add_u32 v18, v0, 3, v17
	v_mad_i32_i24 v19, v4, 12, 0
	s_mov_b32 s1, exec_lo
	global_wb scope:SCOPE_SE
	s_wait_dscnt 0x0
	s_barrier_signal -1
	s_barrier_wait -1
	global_inv scope:SCOPE_SE
	v_pk_add_f16 v1, v8, v11
	v_pk_add_f16 v16, v10, v13
	;; [unrolled: 1-line block ×3, first 2 shown]
	v_pk_add_f16 v13, v13, v5 neg_lo:[0,1] neg_hi:[0,1]
	v_pk_add_f16 v22, v11, v14
	v_pk_add_f16 v23, v11, v14 neg_lo:[0,1] neg_hi:[0,1]
	v_pk_add_f16 v21, v9, v12
	v_pk_add_f16 v24, v12, v15
	v_pk_add_f16 v12, v12, v15 neg_lo:[0,1] neg_hi:[0,1]
	v_pk_add_f16 v7, v1, v14
	v_pk_add_f16 v11, v16, v5
	v_pk_fma_f16 v1, v20, 0.5, v10 op_sel_hi:[1,0,1] neg_lo:[1,0,0] neg_hi:[1,0,0]
	v_pk_mul_f16 v5, 0x3aee, v13 op_sel_hi:[0,1]
	v_pk_fma_f16 v8, v22, 0.5, v8 op_sel_hi:[1,0,1] neg_lo:[1,0,0] neg_hi:[1,0,0]
	v_pk_mul_f16 v10, 0x3aee, v23 op_sel_hi:[0,1]
	v_pk_add_f16 v14, v21, v15
	v_pk_fma_f16 v15, v24, 0.5, v9 op_sel_hi:[1,0,1] neg_lo:[1,0,0] neg_hi:[1,0,0]
	v_pk_mul_f16 v20, 0x3aee, v12 op_sel_hi:[0,1]
	v_pk_add_f16 v12, v1, v5 op_sel:[0,1] op_sel_hi:[1,0]
	v_pk_add_f16 v13, v8, v10 op_sel:[0,1] op_sel_hi:[1,0] neg_lo:[0,1] neg_hi:[0,1]
	v_pk_add_f16 v8, v8, v10 op_sel:[0,1] op_sel_hi:[1,0]
	v_pk_add_f16 v9, v1, v5 op_sel:[0,1] op_sel_hi:[1,0] neg_lo:[0,1] neg_hi:[0,1]
	v_pk_add_f16 v16, v15, v20 op_sel:[0,1] op_sel_hi:[1,0] neg_lo:[0,1] neg_hi:[0,1]
	v_pk_add_f16 v15, v15, v20 op_sel:[0,1] op_sel_hi:[1,0]
	v_lshrrev_b32_e32 v1, 16, v12
	v_bfi_b32 v5, 0xffff, v8, v13
	v_bfi_b32 v10, 0xffff, v13, v8
	s_delay_alu instid0(VALU_DEP_4)
	v_bfi_b32 v20, 0xffff, v15, v16
	v_bfi_b32 v21, 0xffff, v16, v15
	ds_store_2addr_b32 v18, v7, v5 offset1:1
	ds_store_b32 v18, v10 offset:8
	ds_store_2addr_b32 v19, v14, v20 offset1:1
	ds_store_b32 v19, v21 offset:8
	v_cmpx_gt_u32_e32 0x9a, v0
	s_cbranch_execz .LBB0_15
; %bb.14:
	v_bfi_b32 v5, 0xffff, v12, v9
	v_mad_i32_i24 v10, v6, 12, 0
	v_perm_b32 v18, v1, v9, 0x5040100
	ds_store_2addr_b32 v10, v11, v5 offset1:1
	ds_store_b32 v10, v18 offset:8
.LBB0_15:
	s_wait_alu 0xfffe
	s_or_b32 exec_lo, exec_lo, s1
	v_lshrrev_b32_e32 v32, 16, v8
	v_lshrrev_b32_e32 v33, 16, v15
	v_cmp_gt_u32_e64 s0, 0xa8, v0
	v_lshrrev_b32_e32 v41, 16, v11
	v_lshrrev_b32_e32 v42, 16, v9
	;; [unrolled: 1-line block ×5, first 2 shown]
	global_wb scope:SCOPE_SE
	s_wait_dscnt 0x0
	s_barrier_signal -1
	s_barrier_wait -1
	global_inv scope:SCOPE_SE
                                        ; implicit-def: $vgpr39
                                        ; implicit-def: $vgpr40
                                        ; implicit-def: $vgpr5
	s_and_saveexec_b32 s1, s0
	s_cbranch_execz .LBB0_17
; %bb.16:
	v_add_nc_u32_e32 v1, 0x1400, v17
	v_add_nc_u32_e32 v11, 0x400, v17
	;; [unrolled: 1-line block ×3, first 2 shown]
	ds_load_2addr_b32 v[7:8], v17 offset1:168
	ds_load_b32 v5, v17 offset:6720
	ds_load_2addr_b32 v[9:10], v1 offset0:64 offset1:232
	v_add_nc_u32_e32 v1, 0xf00, v17
	ds_load_2addr_b32 v[13:14], v11 offset0:80 offset1:248
	ds_load_2addr_b32 v[15:16], v12 offset0:32 offset1:200
	;; [unrolled: 1-line block ×3, first 2 shown]
	s_wait_dscnt 0x5
	v_lshrrev_b32_e32 v35, 16, v8
	s_wait_dscnt 0x4
	v_lshrrev_b32_e32 v40, 16, v5
	;; [unrolled: 2-line block ×3, first 2 shown]
	v_lshrrev_b32_e32 v39, 16, v10
	s_wait_dscnt 0x2
	v_lshrrev_b32_e32 v32, 16, v13
	v_lshrrev_b32_e32 v34, 16, v14
	s_wait_dscnt 0x1
	v_lshrrev_b32_e32 v43, 16, v15
	;; [unrolled: 3-line block ×3, first 2 shown]
	v_lshrrev_b32_e32 v42, 16, v12
.LBB0_17:
	s_wait_alu 0xfffe
	s_or_b32 exec_lo, exec_lo, s1
	v_and_b32_e32 v18, 0xff, v0
	v_lshrrev_b32_e32 v24, 16, v7
	s_delay_alu instid0(VALU_DEP_2) | instskip(NEXT) | instid1(VALU_DEP_1)
	v_mul_lo_u16 v19, 0xab, v18
	v_lshrrev_b16 v20, 9, v19
	s_delay_alu instid0(VALU_DEP_1) | instskip(NEXT) | instid1(VALU_DEP_1)
	v_mul_lo_u16 v19, v20, 3
	v_sub_nc_u16 v19, v0, v19
	s_delay_alu instid0(VALU_DEP_1) | instskip(NEXT) | instid1(VALU_DEP_1)
	v_and_b32_e32 v19, 0xff, v19
	v_mul_u32_u24_e32 v21, 10, v19
	s_delay_alu instid0(VALU_DEP_1)
	v_lshlrev_b32_e32 v21, 2, v21
	s_clause 0x2
	global_load_b128 v[44:47], v21, s[4:5]
	global_load_b128 v[48:51], v21, s[4:5] offset:16
	global_load_b64 v[52:53], v21, s[4:5] offset:32
	global_wb scope:SCOPE_SE
	s_wait_loadcnt 0x0
	s_barrier_signal -1
	s_barrier_wait -1
	global_inv scope:SCOPE_SE
	v_lshrrev_b32_e32 v21, 16, v44
	v_lshrrev_b32_e32 v22, 16, v45
	;; [unrolled: 1-line block ×8, first 2 shown]
	v_mul_f16_e32 v56, v35, v21
	v_mul_f16_e32 v31, v8, v21
	;; [unrolled: 1-line block ×9, first 2 shown]
	v_lshrrev_b32_e32 v26, 16, v48
	v_mul_f16_e32 v58, v34, v23
	v_mul_f16_e32 v29, v14, v23
	;; [unrolled: 1-line block ×7, first 2 shown]
	v_fma_f16 v38, v8, v44, -v56
	v_fmac_f16_e32 v31, v35, v44
	v_fmac_f16_e32 v30, v32, v45
	v_fma_f16 v32, v12, v50, -v62
	v_fma_f16 v12, v5, v53, -v54
	v_fmac_f16_e32 v21, v40, v53
	v_lshrrev_b32_e32 v36, 16, v49
	v_mul_f16_e32 v60, v33, v26
	v_fma_f16 v37, v13, v45, -v57
	v_fma_f16 v35, v15, v47, -v59
	;; [unrolled: 1-line block ×3, first 2 shown]
	v_fmac_f16_e32 v22, v39, v52
	v_sub_f16_e32 v76, v38, v12
	v_sub_f16_e32 v83, v31, v21
	v_mul_f16_e32 v27, v16, v26
	v_mul_f16_e32 v61, v41, v36
	;; [unrolled: 1-line block ×3, first 2 shown]
	v_fma_f16 v36, v14, v46, -v58
	v_fmac_f16_e32 v29, v34, v46
	v_fma_f16 v34, v16, v48, -v60
	v_fmac_f16_e32 v25, v42, v50
	;; [unrolled: 2-line block ×3, first 2 shown]
	v_add_f16_e32 v54, v38, v12
	v_add_f16_e32 v82, v31, v21
	v_sub_f16_e32 v79, v37, v15
	v_sub_f16_e32 v89, v30, v22
	v_mul_f16_e32 v39, 0xb853, v83
	v_mul_f16_e32 v44, 0xb853, v76
	;; [unrolled: 1-line block ×8, first 2 shown]
	v_fmac_f16_e32 v28, v43, v47
	v_fmac_f16_e32 v27, v33, v48
	v_fma_f16 v33, v11, v49, -v61
	v_add_f16_e32 v64, v37, v15
	v_add_f16_e32 v71, v30, v22
	v_sub_f16_e32 v84, v36, v16
	v_sub_f16_e32 v94, v29, v23
	v_mul_f16_e32 v40, 0xbb47, v89
	v_mul_f16_e32 v45, 0xbb47, v79
	;; [unrolled: 1-line block ×8, first 2 shown]
	v_fmamk_f16 v1, v54, 0x3abb, v39
	v_fma_f16 v5, v82, 0x3abb, -v44
	v_fmamk_f16 v8, v54, 0x36a6, v50
	v_fma_f16 v9, v82, 0x36a6, -v55
	;; [unrolled: 2-line block ×4, first 2 shown]
	v_fmac_f16_e32 v26, v41, v49
	v_add_f16_e32 v66, v36, v16
	v_add_f16_e32 v68, v29, v23
	v_sub_f16_e32 v87, v35, v32
	v_sub_f16_e32 v96, v28, v25
	v_mul_f16_e32 v41, 0xbbeb, v94
	v_mul_f16_e32 v46, 0xbbeb, v84
	;; [unrolled: 1-line block ×8, first 2 shown]
	v_fmamk_f16 v99, v64, 0x36a6, v40
	v_fma_f16 v100, v71, 0x36a6, -v45
	v_fmamk_f16 v101, v64, 0xb93d, v51
	v_fma_f16 v102, v71, 0xb93d, -v57
	;; [unrolled: 2-line block ×4, first 2 shown]
	v_add_f16_e32 v1, v7, v1
	v_add_f16_e32 v5, v24, v5
	;; [unrolled: 1-line block ×10, first 2 shown]
	v_sub_f16_e32 v92, v34, v33
	v_sub_f16_e32 v97, v27, v26
	v_mul_f16_e32 v43, 0xba0c, v96
	v_mul_f16_e32 v47, 0xba0c, v87
	;; [unrolled: 1-line block ×8, first 2 shown]
	v_fmamk_f16 v107, v66, 0xb08e, v41
	v_fma_f16 v108, v68, 0xb08e, -v46
	v_fmamk_f16 v109, v66, 0xbbad, v48
	v_fma_f16 v110, v68, 0xbbad, -v58
	;; [unrolled: 2-line block ×4, first 2 shown]
	v_add_f16_e32 v1, v99, v1
	v_add_f16_e32 v5, v100, v5
	;; [unrolled: 1-line block ×10, first 2 shown]
	v_mul_f16_e32 v42, 0xb482, v97
	v_mul_f16_e32 v53, 0xb482, v92
	;; [unrolled: 1-line block ×8, first 2 shown]
	v_fmamk_f16 v115, v65, 0xb93d, v43
	v_fma_f16 v116, v67, 0xb93d, -v47
	v_fmamk_f16 v117, v65, 0xb08e, v49
	v_fma_f16 v118, v67, 0xb08e, -v56
	;; [unrolled: 2-line block ×4, first 2 shown]
	v_add_f16_e32 v1, v107, v1
	v_add_f16_e32 v5, v108, v5
	;; [unrolled: 1-line block ×8, first 2 shown]
	v_fmamk_f16 v103, v63, 0xbbad, v42
	v_fma_f16 v104, v70, 0xbbad, -v53
	v_fmamk_f16 v105, v63, 0x3abb, v52
	v_fma_f16 v106, v70, 0x3abb, -v74
	;; [unrolled: 2-line block ×4, first 2 shown]
	v_add_f16_e32 v1, v115, v1
	v_add_f16_e32 v5, v116, v5
	;; [unrolled: 1-line block ×16, first 2 shown]
	s_and_saveexec_b32 s1, s0
	s_cbranch_execz .LBB0_19
; %bb.18:
	v_mul_f16_e32 v100, 0xbbad, v82
	v_mul_f16_e32 v106, 0x3abb, v71
	v_mul_f16_e32 v83, 0xb482, v83
	v_mul_f16_e32 v110, 0xb93d, v68
	v_mul_f16_e32 v89, 0x3853, v89
	v_fmamk_f16 v105, v76, 0x3482, v100
	v_fmamk_f16 v109, v79, 0xb853, v106
	;; [unrolled: 1-line block ×3, first 2 shown]
	v_mul_f16_e32 v112, 0x36a6, v67
	v_fmamk_f16 v113, v64, 0x3abb, v89
	v_add_f16_e32 v105, v24, v105
	v_mul_f16_e32 v94, 0xba0c, v94
	v_add_f16_e32 v111, v7, v111
	v_mul_f16_e32 v96, 0x3b47, v96
	v_fmac_f16_e32 v100, 0xb482, v76
	v_add_f16_e32 v105, v109, v105
	v_fmamk_f16 v109, v84, 0x3a0c, v110
	v_add_f16_e32 v111, v113, v111
	v_fmamk_f16 v113, v66, 0xb93d, v94
	v_add_f16_e32 v100, v24, v100
	v_fmac_f16_e32 v106, 0x3853, v79
	v_add_f16_e32 v105, v109, v105
	v_fmamk_f16 v109, v87, 0xbb47, v112
	v_add_f16_e32 v111, v113, v111
	v_fmamk_f16 v113, v65, 0x36a6, v96
	v_mul_f16_e32 v79, 0xbbeb, v97
	v_mul_f16_e32 v99, 0x3abb, v54
	v_add_f16_e32 v105, v109, v105
	v_mul_f16_e32 v109, 0xb08e, v70
	v_mul_f16_e32 v101, 0x3abb, v82
	;; [unrolled: 1-line block ×8, first 2 shown]
	v_add_f16_e32 v111, v113, v111
	v_fmamk_f16 v113, v92, 0x3beb, v109
	v_add_f16_e32 v100, v106, v100
	v_fmamk_f16 v106, v63, 0xb08e, v79
	v_fmac_f16_e32 v110, 0xba0c, v84
	v_fma_f16 v54, v54, 0xbbad, -v83
	v_add_f16_e32 v38, v7, v38
	v_add_f16_e32 v31, v24, v31
	v_mul_f16_e32 v114, 0x36a6, v64
	v_mul_f16_e32 v76, 0x36a6, v71
	;; [unrolled: 1-line block ×4, first 2 shown]
	v_add_f16_e32 v105, v113, v105
	v_mul_f16_e32 v113, 0xbbad, v64
	v_add_f16_e32 v106, v106, v111
	v_mul_f16_e32 v111, 0xbbad, v71
	;; [unrolled: 2-line block ×3, first 2 shown]
	v_mul_f16_e32 v71, 0xb08e, v71
	v_fmac_f16_e32 v112, 0x3b47, v87
	v_fma_f16 v64, v64, 0x3abb, -v89
	v_add_f16_e32 v54, v7, v54
	v_add_f16_e32 v82, v91, v82
	;; [unrolled: 1-line block ×4, first 2 shown]
	v_mul_f16_e32 v83, 0xb08e, v66
	v_mul_f16_e32 v87, 0xb08e, v68
	;; [unrolled: 1-line block ×3, first 2 shown]
	v_add_f16_e32 v100, v112, v100
	v_mul_f16_e32 v112, 0xbbad, v68
	v_fmac_f16_e32 v109, 0xbbeb, v92
	v_mul_f16_e32 v92, 0x36a6, v66
	v_add_f16_e32 v54, v64, v54
	v_mul_f16_e32 v64, 0x36a6, v68
	v_mul_f16_e32 v91, 0x3abb, v66
	;; [unrolled: 1-line block ×3, first 2 shown]
	v_fma_f16 v66, v66, 0xb93d, -v94
	v_add_f16_e32 v71, v90, v71
	v_add_f16_e32 v82, v24, v82
	;; [unrolled: 1-line block ×4, first 2 shown]
	v_mul_f16_e32 v90, 0xb93d, v67
	v_add_f16_e32 v54, v66, v54
	v_mul_f16_e32 v66, 0xb08e, v67
	v_add_f16_e32 v71, v71, v82
	v_sub_f16_e32 v81, v108, v81
	v_mul_f16_e32 v108, 0x3abb, v67
	v_add_f16_e32 v68, v86, v68
	v_mul_f16_e32 v67, 0xbbad, v67
	v_add_f16_e32 v35, v36, v35
	v_add_f16_e32 v28, v29, v28
	v_sub_f16_e32 v80, v110, v80
	v_mul_f16_e32 v110, 0xbbad, v70
	v_add_f16_e32 v68, v68, v71
	v_add_f16_e32 v67, v85, v67
	v_mul_f16_e32 v85, 0x3abb, v70
	v_add_f16_e32 v73, v73, v107
	v_mul_f16_e32 v107, 0xb93d, v70
	v_mul_f16_e32 v70, 0x36a6, v70
	v_sub_f16_e32 v62, v104, v62
	v_add_f16_e32 v55, v55, v103
	v_sub_f16_e32 v50, v102, v50
	v_add_f16_e32 v44, v44, v101
	;; [unrolled: 2-line block ×3, first 2 shown]
	v_add_f16_e32 v27, v28, v27
	v_add_f16_e32 v81, v7, v81
	v_add_f16_e32 v67, v67, v68
	v_add_f16_e32 v68, v98, v70
	v_add_f16_e32 v70, v24, v73
	v_add_f16_e32 v62, v7, v62
	v_add_f16_e32 v55, v24, v55
	v_add_f16_e32 v50, v7, v50
	v_add_f16_e32 v24, v24, v44
	v_add_f16_e32 v30, v45, v76
	v_add_f16_e32 v7, v7, v36
	v_sub_f16_e32 v28, v114, v40
	v_add_f16_e32 v29, v29, v33
	v_add_f16_e32 v26, v27, v26
	v_mul_f16_e32 v94, 0xb93d, v65
	v_add_f16_e32 v72, v72, v111
	v_sub_f16_e32 v60, v113, v60
	v_add_f16_e32 v57, v57, v84
	v_sub_f16_e32 v51, v97, v51
	v_add_f16_e32 v24, v30, v24
	v_add_f16_e32 v30, v46, v87
	;; [unrolled: 1-line block ×4, first 2 shown]
	v_sub_f16_e32 v28, v83, v41
	v_add_f16_e32 v25, v26, v25
	v_add_f16_e32 v100, v109, v100
	v_mul_f16_e32 v109, 0xb08e, v65
	v_mul_f16_e32 v82, 0x3abb, v65
	;; [unrolled: 1-line block ×3, first 2 shown]
	v_fma_f16 v65, v65, 0x36a6, -v96
	v_mul_f16_e32 v96, 0xbbad, v63
	v_add_f16_e32 v67, v68, v67
	v_add_f16_e32 v68, v72, v70
	;; [unrolled: 1-line block ×4, first 2 shown]
	v_sub_f16_e32 v61, v92, v61
	v_add_f16_e32 v55, v57, v55
	v_add_f16_e32 v57, v58, v112
	;; [unrolled: 1-line block ×3, first 2 shown]
	v_sub_f16_e32 v48, v89, v48
	v_add_f16_e32 v24, v30, v24
	v_add_f16_e32 v30, v47, v90
	;; [unrolled: 1-line block ×4, first 2 shown]
	v_sub_f16_e32 v27, v94, v43
	v_add_f16_e32 v23, v25, v23
	v_add_f16_e32 v80, v80, v81
	v_sub_f16_e32 v77, v91, v77
	v_mul_f16_e32 v71, 0x3abb, v63
	v_add_f16_e32 v54, v65, v54
	v_mul_f16_e32 v65, 0xb93d, v63
	v_add_f16_e32 v64, v64, v68
	v_add_f16_e32 v68, v69, v108
	;; [unrolled: 1-line block ×3, first 2 shown]
	v_sub_f16_e32 v59, v82, v59
	v_add_f16_e32 v55, v57, v55
	v_add_f16_e32 v56, v56, v66
	;; [unrolled: 1-line block ×3, first 2 shown]
	v_sub_f16_e32 v37, v109, v49
	v_add_f16_e32 v24, v30, v24
	v_add_f16_e32 v26, v53, v110
	;; [unrolled: 1-line block ×3, first 2 shown]
	v_and_b32_e32 v16, 0xffff, v20
	v_add_f16_e32 v7, v27, v7
	v_add_f16_e32 v20, v23, v22
	v_sub_f16_e32 v22, v96, v42
	v_mul_f16_e32 v81, 0x36a6, v63
	v_add_f16_e32 v73, v77, v80
	v_sub_f16_e32 v77, v86, v78
	v_add_f16_e32 v64, v68, v64
	v_add_f16_e32 v68, v93, v107
	;; [unrolled: 1-line block ×3, first 2 shown]
	v_sub_f16_e32 v59, v65, v88
	v_add_f16_e32 v55, v56, v55
	v_add_f16_e32 v38, v74, v85
	;; [unrolled: 1-line block ×5, first 2 shown]
	v_mul_u32_u24_e32 v15, 0x84, v16
	v_lshlrev_b32_e32 v16, 2, v19
	v_add_f16_e32 v19, v20, v21
	v_add_f16_e32 v7, v22, v7
	v_sub_f16_e32 v20, v71, v52
	v_fma_f16 v63, v63, 0xb08e, -v79
	v_add_f16_e32 v70, v77, v73
	v_sub_f16_e32 v72, v81, v95
	v_add_f16_e32 v58, v68, v64
	v_add_f16_e32 v21, v38, v55
	v_add3_u32 v15, 0, v15, v16
	v_pack_b32_f16 v12, v12, v19
	v_pack_b32_f16 v7, v7, v24
	v_add_f16_e32 v16, v20, v31
	v_add_f16_e32 v19, v59, v57
	;; [unrolled: 1-line block ×4, first 2 shown]
	ds_store_2addr_b32 v15, v12, v7 offset1:3
	v_pack_b32_f16 v7, v16, v21
	v_pack_b32_f16 v12, v19, v58
	;; [unrolled: 1-line block ×5, first 2 shown]
	v_perm_b32 v21, v5, v1, 0x5040100
	v_perm_b32 v22, v14, v13, 0x5040100
	;; [unrolled: 1-line block ×4, first 2 shown]
	ds_store_2addr_b32 v15, v7, v12 offset0:6 offset1:9
	ds_store_2addr_b32 v15, v16, v19 offset0:12 offset1:15
	ds_store_2addr_b32 v15, v20, v21 offset0:18 offset1:21
	ds_store_2addr_b32 v15, v22, v23 offset0:24 offset1:27
	ds_store_b32 v15, v24 offset:120
.LBB0_19:
	s_wait_alu 0xfffe
	s_or_b32 exec_lo, exec_lo, s1
	global_wb scope:SCOPE_SE
	s_wait_dscnt 0x0
	s_barrier_signal -1
	s_barrier_wait -1
	global_inv scope:SCOPE_SE
	ds_load_b32 v22, v17
	ds_load_b32 v28, v17 offset:1056
	ds_load_b32 v27, v17 offset:2112
	;; [unrolled: 1-line block ×6, first 2 shown]
	v_cmp_gt_u32_e64 s0, 33, v0
	v_lshl_add_u32 v12, v4, 2, 0
                                        ; implicit-def: $vgpr16
                                        ; implicit-def: $vgpr7
                                        ; implicit-def: $vgpr21
                                        ; implicit-def: $vgpr20
                                        ; implicit-def: $vgpr19
                                        ; implicit-def: $vgpr15
	s_delay_alu instid0(VALU_DEP_2)
	s_and_saveexec_b32 s1, s0
	s_cbranch_execz .LBB0_21
; %bb.20:
	ds_load_b32 v1, v12
	ds_load_b32 v8, v17 offset:4092
	ds_load_b32 v7, v17 offset:5148
	;; [unrolled: 1-line block ×5, first 2 shown]
	ds_load_u16 v9, v17 offset:3038
	ds_load_b32 v11, v17 offset:3036
	s_wait_dscnt 0x7
	v_lshrrev_b32_e32 v5, 16, v1
	s_wait_dscnt 0x6
	v_lshrrev_b32_e32 v10, 16, v8
	;; [unrolled: 2-line block ×6, first 2 shown]
.LBB0_21:
	s_wait_alu 0xfffe
	s_or_b32 exec_lo, exec_lo, s1
	v_mul_lo_u16 v18, 0xf9, v18
	s_wait_dscnt 0x5
	v_lshrrev_b32_e32 v36, 16, v28
	s_wait_dscnt 0x4
	v_lshrrev_b32_e32 v37, 16, v27
	;; [unrolled: 2-line block ×4, first 2 shown]
	v_lshrrev_b16 v18, 13, v18
	v_lshrrev_b32_e32 v38, 16, v25
	v_lshrrev_b32_e32 v39, 16, v24
	;; [unrolled: 1-line block ×3, first 2 shown]
	s_delay_alu instid0(VALU_DEP_4) | instskip(SKIP_1) | instid1(VALU_DEP_2)
	v_mul_lo_u16 v29, v18, 33
	v_and_b32_e32 v18, 0xffff, v18
	v_sub_nc_u16 v29, v0, v29
	s_delay_alu instid0(VALU_DEP_2) | instskip(NEXT) | instid1(VALU_DEP_2)
	v_mul_u32_u24_e32 v18, 0x39c, v18
	v_and_b32_e32 v35, 0xff, v29
	s_delay_alu instid0(VALU_DEP_1) | instskip(SKIP_1) | instid1(VALU_DEP_2)
	v_mul_u32_u24_e32 v29, 6, v35
	v_lshlrev_b32_e32 v35, 2, v35
	v_lshlrev_b32_e32 v33, 2, v29
	s_delay_alu instid0(VALU_DEP_2)
	v_add3_u32 v18, 0, v18, v35
	s_clause 0x1
	global_load_b128 v[29:32], v33, s[4:5] offset:120
	global_load_b64 v[33:34], v33, s[4:5] offset:136
	global_wb scope:SCOPE_SE
	s_wait_loadcnt 0x0
	s_barrier_signal -1
	s_barrier_wait -1
	global_inv scope:SCOPE_SE
	v_lshrrev_b32_e32 v35, 16, v29
	v_lshrrev_b32_e32 v43, 16, v30
	;; [unrolled: 1-line block ×6, first 2 shown]
	v_mul_f16_e32 v48, v35, v36
	v_mul_f16_e32 v35, v35, v28
	;; [unrolled: 1-line block ×12, first 2 shown]
	v_fma_f16 v28, v29, v28, -v48
	v_fmac_f16_e32 v35, v29, v36
	v_fma_f16 v27, v30, v27, -v49
	v_fmac_f16_e32 v43, v30, v37
	v_fma_f16 v26, v34, v26, -v53
	v_fmac_f16_e32 v47, v34, v41
	v_fma_f16 v23, v33, v23, -v52
	v_fmac_f16_e32 v46, v33, v40
	v_fma_f16 v25, v31, v25, -v50
	v_fmac_f16_e32 v44, v31, v38
	v_fma_f16 v24, v32, v24, -v51
	v_fmac_f16_e32 v45, v32, v39
	v_add_f16_e32 v29, v28, v26
	v_add_f16_e32 v30, v35, v47
	;; [unrolled: 1-line block ×4, first 2 shown]
	v_sub_f16_e32 v26, v28, v26
	v_sub_f16_e32 v28, v35, v47
	;; [unrolled: 1-line block ×4, first 2 shown]
	v_add_f16_e32 v33, v25, v24
	v_add_f16_e32 v34, v44, v45
	v_sub_f16_e32 v24, v24, v25
	v_sub_f16_e32 v25, v45, v44
	v_add_f16_e32 v35, v31, v29
	v_add_f16_e32 v36, v32, v30
	v_sub_f16_e32 v37, v31, v29
	v_sub_f16_e32 v38, v32, v30
	;; [unrolled: 1-line block ×6, first 2 shown]
	v_add_f16_e32 v39, v24, v23
	v_add_f16_e32 v40, v25, v27
	v_sub_f16_e32 v41, v24, v23
	v_sub_f16_e32 v43, v25, v27
	;; [unrolled: 1-line block ×4, first 2 shown]
	v_add_f16_e32 v33, v33, v35
	v_add_f16_e32 v34, v34, v36
	v_sub_f16_e32 v24, v26, v24
	v_sub_f16_e32 v25, v28, v25
	v_add_f16_e32 v26, v39, v26
	v_add_f16_e32 v28, v40, v28
	v_mul_f16_e32 v29, 0x3a52, v29
	v_mul_f16_e32 v30, 0x3a52, v30
	;; [unrolled: 1-line block ×8, first 2 shown]
	v_add_f16_e32 v22, v33, v22
	v_add_f16_e32 v42, v34, v42
	v_fmamk_f16 v31, v31, 0x2b26, v29
	v_fmamk_f16 v32, v32, 0x2b26, v30
	v_fma_f16 v35, v37, 0x39e0, -v35
	v_fma_f16 v36, v38, 0x39e0, -v36
	;; [unrolled: 1-line block ×4, first 2 shown]
	v_fmamk_f16 v37, v24, 0x3574, v39
	v_fmamk_f16 v38, v25, 0x3574, v40
	v_fma_f16 v23, v23, 0x3b00, -v39
	v_fma_f16 v27, v27, 0x3b00, -v40
	;; [unrolled: 1-line block ×4, first 2 shown]
	v_fmamk_f16 v33, v33, 0xbcab, v22
	v_fmamk_f16 v34, v34, 0xbcab, v42
	v_fmac_f16_e32 v37, 0x370e, v26
	v_fmac_f16_e32 v38, 0x370e, v28
	;; [unrolled: 1-line block ×6, first 2 shown]
	v_add_f16_e32 v26, v31, v33
	v_add_f16_e32 v28, v32, v34
	v_add_f16_e32 v31, v35, v33
	v_add_f16_e32 v29, v29, v33
	v_add_f16_e32 v30, v30, v34
	v_add_f16_e32 v32, v36, v34
	v_add_f16_e32 v33, v38, v26
	v_sub_f16_e32 v34, v28, v37
	v_add_f16_e32 v35, v25, v29
	v_sub_f16_e32 v36, v30, v24
	v_sub_f16_e32 v39, v31, v27
	v_add_f16_e32 v40, v23, v32
	v_add_f16_e32 v27, v27, v31
	v_sub_f16_e32 v23, v32, v23
	v_sub_f16_e32 v25, v29, v25
	v_add_f16_e32 v24, v24, v30
	v_sub_f16_e32 v26, v26, v38
	v_add_f16_e32 v28, v37, v28
	v_pack_b32_f16 v22, v22, v42
	v_pack_b32_f16 v29, v33, v34
	;; [unrolled: 1-line block ×7, first 2 shown]
	ds_store_2addr_b32 v18, v22, v29 offset1:33
	ds_store_2addr_b32 v18, v30, v31 offset0:66 offset1:99
	ds_store_2addr_b32 v18, v23, v24 offset0:132 offset1:165
	ds_store_b32 v18, v25 offset:792
	s_and_saveexec_b32 s1, s0
	s_cbranch_execz .LBB0_23
; %bb.22:
	v_and_b32_e32 v18, 0xffff, v4
	s_delay_alu instid0(VALU_DEP_1) | instskip(NEXT) | instid1(VALU_DEP_1)
	v_mul_u32_u24_e32 v18, 0xf83f, v18
	v_lshrrev_b32_e32 v18, 21, v18
	s_delay_alu instid0(VALU_DEP_1) | instskip(NEXT) | instid1(VALU_DEP_1)
	v_mul_lo_u16 v18, v18, 33
	v_sub_nc_u16 v18, v4, v18
	s_delay_alu instid0(VALU_DEP_1) | instskip(NEXT) | instid1(VALU_DEP_1)
	v_and_b32_e32 v18, 0xffff, v18
	v_mul_u32_u24_e32 v22, 6, v18
	v_lshl_add_u32 v18, v18, 2, 0
	s_delay_alu instid0(VALU_DEP_2) | instskip(NEXT) | instid1(VALU_DEP_2)
	v_lshlrev_b32_e32 v26, 2, v22
	v_add_nc_u32_e32 v28, 0x1800, v18
	s_clause 0x1
	global_load_b128 v[22:25], v26, s[4:5] offset:120
	global_load_b64 v[26:27], v26, s[4:5] offset:136
	s_wait_loadcnt 0x1
	v_lshrrev_b32_e32 v29, 16, v22
	v_lshrrev_b32_e32 v30, 16, v23
	s_wait_loadcnt 0x0
	v_lshrrev_b32_e32 v31, 16, v27
	v_lshrrev_b32_e32 v32, 16, v25
	;; [unrolled: 1-line block ×4, first 2 shown]
	v_mul_f16_e32 v35, v14, v29
	v_mul_f16_e32 v36, v21, v31
	v_mul_f16_e32 v37, v16, v32
	v_mul_f16_e32 v38, v10, v33
	v_mul_f16_e32 v39, v9, v30
	v_mul_f16_e32 v40, v19, v34
	v_mul_f16_e32 v31, v20, v31
	v_mul_f16_e32 v29, v13, v29
	v_mul_f16_e32 v34, v15, v34
	v_mul_f16_e32 v30, v11, v30
	v_mul_f16_e32 v33, v8, v33
	v_mul_f16_e32 v32, v7, v32
	v_fma_f16 v13, v13, v22, -v35
	v_fma_f16 v20, v20, v27, -v36
	;; [unrolled: 1-line block ×6, first 2 shown]
	v_fmac_f16_e32 v31, v21, v27
	v_fmac_f16_e32 v29, v14, v22
	;; [unrolled: 1-line block ×6, first 2 shown]
	v_sub_f16_e32 v9, v13, v20
	v_sub_f16_e32 v10, v7, v8
	v_add_f16_e32 v16, v29, v31
	v_add_f16_e32 v21, v30, v34
	;; [unrolled: 1-line block ×5, first 2 shown]
	v_sub_f16_e32 v14, v11, v15
	v_add_f16_e32 v19, v33, v32
	v_sub_f16_e32 v11, v29, v31
	v_sub_f16_e32 v15, v32, v33
	;; [unrolled: 1-line block ×3, first 2 shown]
	v_add_f16_e32 v26, v21, v16
	v_add_f16_e32 v30, v8, v13
	v_sub_f16_e32 v22, v9, v10
	v_sub_f16_e32 v23, v10, v14
	v_add_f16_e32 v10, v10, v14
	v_sub_f16_e32 v24, v16, v19
	v_sub_f16_e32 v25, v19, v21
	;; [unrolled: 1-line block ×6, first 2 shown]
	v_add_f16_e32 v15, v15, v20
	v_sub_f16_e32 v14, v14, v9
	v_add_f16_e32 v19, v19, v26
	v_add_f16_e32 v7, v7, v30
	v_sub_f16_e32 v8, v8, v13
	v_sub_f16_e32 v13, v20, v11
	v_mul_f16_e32 v20, 0xb846, v23
	v_add_f16_e32 v9, v10, v9
	v_mul_f16_e32 v10, 0x3a52, v24
	v_mul_f16_e32 v23, 0x3a52, v27
	;; [unrolled: 1-line block ×3, first 2 shown]
	v_add_f16_e32 v11, v15, v11
	v_mul_f16_e32 v15, 0x3b00, v14
	v_add_f16_e32 v5, v5, v19
	v_add_f16_e32 v1, v1, v7
	v_sub_f16_e32 v16, v21, v16
	v_mul_f16_e32 v21, 0x2b26, v25
	v_mul_f16_e32 v24, 0x2b26, v29
	;; [unrolled: 1-line block ×3, first 2 shown]
	v_fmamk_f16 v30, v22, 0x3574, v20
	v_fmamk_f16 v25, v25, 0x2b26, v10
	;; [unrolled: 1-line block ×4, first 2 shown]
	v_fma_f16 v15, v22, 0xb574, -v15
	v_fma_f16 v14, v14, 0x3b00, -v20
	v_fmamk_f16 v19, v19, 0xbcab, v5
	v_fmamk_f16 v7, v7, 0xbcab, v1
	v_fma_f16 v10, v16, 0xb9e0, -v10
	v_fma_f16 v22, v8, 0xb9e0, -v23
	;; [unrolled: 1-line block ×6, first 2 shown]
	v_fmac_f16_e32 v30, 0x370e, v9
	v_fmac_f16_e32 v32, 0x370e, v11
	;; [unrolled: 1-line block ×4, first 2 shown]
	v_pack_b32_f16 v1, v1, v5
	v_add_f16_e32 v5, v25, v19
	v_add_f16_e32 v9, v29, v7
	v_fmac_f16_e32 v23, 0x370e, v11
	v_fmac_f16_e32 v13, 0x370e, v11
	v_add_f16_e32 v10, v10, v19
	v_add_f16_e32 v11, v22, v7
	;; [unrolled: 1-line block ×5, first 2 shown]
	v_sub_f16_e32 v19, v9, v32
	v_sub_f16_e32 v5, v5, v30
	v_add_f16_e32 v9, v32, v9
	v_add_f16_e32 v20, v15, v10
	v_sub_f16_e32 v21, v16, v14
	v_add_f16_e32 v14, v14, v16
	v_sub_f16_e32 v10, v10, v15
	;; [unrolled: 2-line block ×4, first 2 shown]
	v_pack_b32_f16 v5, v9, v5
	v_pack_b32_f16 v9, v15, v10
	;; [unrolled: 1-line block ×6, first 2 shown]
	ds_store_2addr_b32 v28, v1, v5 offset0:81 offset1:114
	ds_store_2addr_b32 v28, v9, v10 offset0:147 offset1:180
	;; [unrolled: 1-line block ×3, first 2 shown]
	ds_store_b32 v18, v8 offset:7260
.LBB0_23:
	s_wait_alu 0xfffe
	s_or_b32 exec_lo, exec_lo, s1
	v_mul_u32_u24_e32 v1, 3, v0
	global_wb scope:SCOPE_SE
	s_wait_dscnt 0x0
	s_barrier_signal -1
	s_barrier_wait -1
	global_inv scope:SCOPE_SE
	v_lshlrev_b32_e32 v1, 2, v1
	v_lshl_add_u32 v13, v6, 2, 0
	v_add_nc_u32_e32 v22, 0xa80, v17
	v_add_nc_u32_e32 v23, 0x1200, v17
	;; [unrolled: 1-line block ×3, first 2 shown]
	global_load_b96 v[14:16], v1, s[4:5] offset:912
	v_mov_b32_e32 v1, 0
	ds_load_u16 v24, v17 offset:6470
	ds_load_b32 v25, v17 offset:6468
	ds_load_b32 v26, v17
	ds_load_b32 v27, v12
	;; [unrolled: 1-line block ×3, first 2 shown]
	ds_load_2addr_b32 v[18:19], v22 offset0:21 offset1:252
	ds_load_2addr_b32 v[20:21], v23 offset0:3 offset1:234
	v_add_nc_u32_e32 v28, 0x700, v17
	v_dual_mov_b32 v7, v1 :: v_dual_add_nc_u32 v30, 0x1580, v17
	v_lshlrev_b64_e32 v[8:9], 2, v[0:1]
	v_mov_b32_e32 v5, v1
	global_wb scope:SCOPE_SE
	s_wait_loadcnt_dscnt 0x0
	s_barrier_signal -1
	v_lshlrev_b64_e32 v[6:7], 2, v[6:7]
	s_barrier_wait -1
	v_lshlrev_b64_e32 v[4:5], 2, v[4:5]
	v_add_co_u32 v10, s0, s4, v8
	s_wait_alu 0xf1ff
	v_add_co_ci_u32_e64 v11, s0, s5, v9, s0
	global_inv scope:SCOPE_SE
	v_add_co_u32 v4, s0, s4, v4
	v_lshrrev_b32_e32 v33, 16, v31
	v_lshrrev_b32_e32 v34, 16, v19
	;; [unrolled: 1-line block ×7, first 2 shown]
	s_wait_alu 0xf1ff
	v_add_co_ci_u32_e64 v5, s0, s5, v5, s0
	v_add_co_u32 v6, s0, s4, v6
	s_wait_alu 0xf1ff
	v_add_co_ci_u32_e64 v7, s0, s5, v7, s0
	v_cmp_ne_u32_e64 s0, 0, v0
	v_lshrrev_b32_e32 v36, 16, v14
	v_lshrrev_b32_e32 v38, 16, v15
	;; [unrolled: 1-line block ×3, first 2 shown]
	s_delay_alu instid0(VALU_DEP_3) | instskip(SKIP_1) | instid1(VALU_DEP_4)
	v_mul_f16_e32 v41, v36, v33
	v_mul_f16_e32 v42, v36, v31
	;; [unrolled: 1-line block ×12, first 2 shown]
	v_fma_f16 v31, v14, v31, -v41
	v_fmac_f16_e32 v42, v14, v33
	v_fma_f16 v19, v15, v19, -v43
	v_fmac_f16_e32 v44, v15, v34
	;; [unrolled: 2-line block ×6, first 2 shown]
	v_sub_f16_e32 v16, v26, v19
	v_sub_f16_e32 v19, v1, v44
	v_sub_f16_e32 v20, v31, v21
	v_sub_f16_e32 v21, v42, v46
	v_sub_f16_e32 v14, v27, v14
	v_sub_f16_e32 v24, v32, v38
	v_sub_f16_e32 v15, v18, v15
	v_sub_f16_e32 v25, v36, v40
	v_fma_f16 v26, v26, 2.0, -v16
	v_fma_f16 v1, v1, 2.0, -v19
	;; [unrolled: 1-line block ×8, first 2 shown]
	v_sub_f16_e32 v21, v16, v21
	v_add_f16_e32 v20, v19, v20
	v_sub_f16_e32 v31, v26, v31
	v_sub_f16_e32 v33, v1, v33
	;; [unrolled: 1-line block ×3, first 2 shown]
	v_add_f16_e32 v15, v24, v15
	v_sub_f16_e32 v18, v27, v18
	v_sub_f16_e32 v34, v32, v34
	v_fma_f16 v16, v16, 2.0, -v21
	v_fma_f16 v19, v19, 2.0, -v20
	v_pack_b32_f16 v20, v21, v20
	v_fma_f16 v21, v26, 2.0, -v31
	v_fma_f16 v1, v1, 2.0, -v33
	;; [unrolled: 1-line block ×4, first 2 shown]
	v_pack_b32_f16 v15, v25, v15
	v_fma_f16 v25, v27, 2.0, -v18
	v_fma_f16 v26, v32, 2.0, -v34
	v_pack_b32_f16 v16, v16, v19
	v_pack_b32_f16 v19, v31, v33
	;; [unrolled: 1-line block ×6, first 2 shown]
	ds_store_2addr_b32 v28, v19, v20 offset0:14 offset1:245
	ds_store_2addr_b32 v30, v18, v15 offset0:10 offset1:241
	ds_store_2addr_b32 v17, v1, v16 offset1:231
	ds_store_2addr_b32 v29, v21, v14 offset0:12 offset1:243
	global_wb scope:SCOPE_SE
	s_wait_dscnt 0x0
	s_barrier_signal -1
	s_barrier_wait -1
	global_inv scope:SCOPE_SE
	s_clause 0x3
	global_load_b32 v1, v[10:11], off offset:3684
	global_load_b32 v16, v[10:11], off offset:6456
	;; [unrolled: 1-line block ×4, first 2 shown]
	ds_load_2addr_b32 v[14:15], v22 offset0:21 offset1:252
	ds_load_b32 v22, v17 offset:6468
	ds_load_2addr_b32 v[18:19], v23 offset0:3 offset1:234
	ds_load_b32 v23, v17
	ds_load_b32 v24, v12
	;; [unrolled: 1-line block ×3, first 2 shown]
	global_wb scope:SCOPE_SE
	s_wait_loadcnt_dscnt 0x0
	s_barrier_signal -1
	s_barrier_wait -1
	global_inv scope:SCOPE_SE
	v_pk_mul_f16 v26, v1, v15 op_sel:[0,1]
	v_pk_mul_f16 v27, v16, v22 op_sel:[0,1]
	v_pk_mul_f16 v28, v20, v19 op_sel:[0,1]
	v_pk_mul_f16 v29, v21, v18 op_sel:[0,1]
	s_delay_alu instid0(VALU_DEP_4)
	v_pk_fma_f16 v30, v1, v15, v26 op_sel:[0,0,1] op_sel_hi:[1,1,0] neg_lo:[0,0,1] neg_hi:[0,0,1]
	v_pk_fma_f16 v1, v1, v15, v26 op_sel:[0,0,1] op_sel_hi:[1,0,0]
	v_pk_fma_f16 v15, v16, v22, v27 op_sel:[0,0,1] op_sel_hi:[1,1,0] neg_lo:[0,0,1] neg_hi:[0,0,1]
	v_pk_fma_f16 v16, v16, v22, v27 op_sel:[0,0,1] op_sel_hi:[1,0,0]
	;; [unrolled: 2-line block ×4, first 2 shown]
	v_bfi_b32 v1, 0xffff, v30, v1
	v_bfi_b32 v15, 0xffff, v15, v16
	;; [unrolled: 1-line block ×3, first 2 shown]
	s_delay_alu instid0(VALU_DEP_4) | instskip(NEXT) | instid1(VALU_DEP_4)
	v_bfi_b32 v16, 0xffff, v21, v19
	v_pk_add_f16 v1, v23, v1 neg_lo:[0,1] neg_hi:[0,1]
	s_delay_alu instid0(VALU_DEP_4) | instskip(NEXT) | instid1(VALU_DEP_4)
	v_pk_add_f16 v15, v14, v15 neg_lo:[0,1] neg_hi:[0,1]
	v_pk_add_f16 v18, v24, v18 neg_lo:[0,1] neg_hi:[0,1]
	s_delay_alu instid0(VALU_DEP_4) | instskip(NEXT) | instid1(VALU_DEP_4)
	v_pk_add_f16 v16, v25, v16 neg_lo:[0,1] neg_hi:[0,1]
	v_pk_fma_f16 v19, v23, 2.0, v1 op_sel_hi:[1,0,1] neg_lo:[0,0,1] neg_hi:[0,0,1]
	s_delay_alu instid0(VALU_DEP_4) | instskip(NEXT) | instid1(VALU_DEP_4)
	v_pk_fma_f16 v14, v14, 2.0, v15 op_sel_hi:[1,0,1] neg_lo:[0,0,1] neg_hi:[0,0,1]
	v_pk_fma_f16 v20, v24, 2.0, v18 op_sel_hi:[1,0,1] neg_lo:[0,0,1] neg_hi:[0,0,1]
	s_delay_alu instid0(VALU_DEP_4)
	v_pk_fma_f16 v21, v25, 2.0, v16 op_sel_hi:[1,0,1] neg_lo:[0,0,1] neg_hi:[0,0,1]
	ds_store_b32 v17, v19
	ds_store_b32 v17, v1 offset:3696
	ds_store_b32 v12, v20
	ds_store_b32 v12, v18 offset:3696
	;; [unrolled: 2-line block ×3, first 2 shown]
	ds_store_b32 v17, v14 offset:2772
	ds_store_b32 v17, v15 offset:6468
	global_wb scope:SCOPE_SE
	s_wait_dscnt 0x0
	s_barrier_signal -1
	s_barrier_wait -1
	global_inv scope:SCOPE_SE
	ds_load_b32 v18, v17
	v_lshlrev_b32_e32 v1, 2, v0
                                        ; implicit-def: $vgpr16
                                        ; implicit-def: $vgpr15
                                        ; implicit-def: $vgpr14
	s_delay_alu instid0(VALU_DEP_1)
	v_sub_nc_u32_e32 v1, 0, v1
	s_and_saveexec_b32 s1, s0
	s_wait_alu 0xfffe
	s_xor_b32 s0, exec_lo, s1
	s_cbranch_execz .LBB0_25
; %bb.24:
	global_load_b32 v10, v[10:11], off offset:7380
	ds_load_b32 v11, v1 offset:7392
	s_wait_dscnt 0x0
	v_pk_add_f16 v14, v18, v11 neg_lo:[0,1] neg_hi:[0,1]
	v_pk_add_f16 v11, v11, v18
	s_delay_alu instid0(VALU_DEP_1) | instskip(SKIP_1) | instid1(VALU_DEP_2)
	v_bfi_b32 v15, 0xffff, v14, v11
	v_bfi_b32 v11, 0xffff, v11, v14
	v_pk_mul_f16 v15, v15, 0.5 op_sel_hi:[1,0]
	s_delay_alu instid0(VALU_DEP_2) | instskip(SKIP_1) | instid1(VALU_DEP_2)
	v_pk_mul_f16 v16, v11, 0.5 op_sel_hi:[1,0]
	s_wait_loadcnt 0x0
	v_pk_mul_f16 v14, v10, v15 op_sel:[1,0]
	v_pk_mul_f16 v10, v10, v15 op_sel_hi:[0,1]
	s_delay_alu instid0(VALU_DEP_3) | instskip(NEXT) | instid1(VALU_DEP_3)
	v_lshrrev_b32_e32 v15, 16, v16
	v_pk_fma_f16 v11, v11, 0.5, v14 op_sel_hi:[1,0,1]
	v_lshrrev_b32_e32 v18, 16, v14
	v_sub_f16_e32 v14, v16, v14
	v_lshrrev_b32_e32 v16, 16, v10
	s_delay_alu instid0(VALU_DEP_4) | instskip(SKIP_2) | instid1(VALU_DEP_4)
	v_pk_add_f16 v19, v11, v10 op_sel:[0,1] op_sel_hi:[1,0]
	v_pk_add_f16 v11, v11, v10 op_sel:[0,1] op_sel_hi:[1,0] neg_lo:[0,1] neg_hi:[0,1]
	v_sub_f16_e32 v18, v18, v15
	v_sub_f16_e32 v15, v14, v16
	s_delay_alu instid0(VALU_DEP_3) | instskip(NEXT) | instid1(VALU_DEP_3)
	v_bfi_b32 v16, 0xffff, v19, v11
	v_sub_f16_e32 v14, v18, v10
                                        ; implicit-def: $vgpr18
.LBB0_25:
	s_wait_alu 0xfffe
	s_and_not1_saveexec_b32 s0, s0
	s_cbranch_execz .LBB0_27
; %bb.26:
	v_mov_b32_e32 v14, 0
	s_wait_dscnt 0x0
	s_wait_alu 0xfffe
	v_alignbit_b32 v11, s0, v18, 16
	v_lshrrev_b32_e32 v15, 16, v18
	ds_load_u16 v10, v14 offset:3698
	v_pk_add_f16 v11, v11, v18
	v_sub_f16_e32 v15, v18, v15
	s_delay_alu instid0(VALU_DEP_2)
	v_pack_b32_f16 v16, v11, 0
	s_wait_dscnt 0x0
	v_xor_b32_e32 v10, 0x8000, v10
	ds_store_b16 v14, v10 offset:3698
.LBB0_27:
	s_wait_alu 0xfffe
	s_or_b32 exec_lo, exec_lo, s0
	s_clause 0x1
	global_load_b32 v10, v[4:5], off offset:7380
	global_load_b32 v6, v[6:7], off offset:7380
	s_add_nc_u64 s[0:1], s[4:5], 0x1cd4
	s_wait_alu 0xfffe
	v_add_co_u32 v4, s0, s0, v8
	s_wait_alu 0xf1ff
	v_add_co_ci_u32_e64 v5, s0, s1, v9, s0
	global_load_b32 v4, v[4:5], off offset:2772
	ds_store_b16 v1, v14 offset:7394
	ds_store_b32 v17, v16
	ds_store_b16 v1, v15 offset:7392
	ds_load_b32 v5, v12
	ds_load_b32 v7, v1 offset:6468
	s_wait_dscnt 0x0
	v_pk_add_f16 v11, v5, v7 neg_lo:[0,1] neg_hi:[0,1]
	v_pk_add_f16 v5, v5, v7
	s_delay_alu instid0(VALU_DEP_1) | instskip(SKIP_1) | instid1(VALU_DEP_2)
	v_bfi_b32 v7, 0xffff, v11, v5
	v_bfi_b32 v5, 0xffff, v5, v11
	v_pk_mul_f16 v7, v7, 0.5 op_sel_hi:[1,0]
	s_delay_alu instid0(VALU_DEP_2) | instskip(SKIP_1) | instid1(VALU_DEP_1)
	v_pk_mul_f16 v5, v5, 0.5 op_sel_hi:[1,0]
	s_wait_loadcnt 0x2
	v_pk_fma_f16 v11, v10, v7, v5 op_sel:[1,0,0]
	v_pk_mul_f16 v14, v10, v7 op_sel_hi:[0,1]
	v_pk_fma_f16 v15, v10, v7, v5 op_sel:[1,0,0] neg_lo:[1,0,0] neg_hi:[1,0,0]
	v_pk_fma_f16 v5, v10, v7, v5 op_sel:[1,0,0] neg_lo:[0,0,1] neg_hi:[0,0,1]
	s_delay_alu instid0(VALU_DEP_3) | instskip(SKIP_1) | instid1(VALU_DEP_4)
	v_pk_add_f16 v7, v11, v14 op_sel:[0,1] op_sel_hi:[1,0]
	v_pk_add_f16 v10, v11, v14 op_sel:[0,1] op_sel_hi:[1,0] neg_lo:[0,1] neg_hi:[0,1]
	v_pk_add_f16 v11, v15, v14 op_sel:[0,1] op_sel_hi:[1,0] neg_lo:[0,1] neg_hi:[0,1]
	s_delay_alu instid0(VALU_DEP_4) | instskip(NEXT) | instid1(VALU_DEP_3)
	v_pk_add_f16 v5, v5, v14 op_sel:[0,1] op_sel_hi:[1,0] neg_lo:[0,1] neg_hi:[0,1]
	v_bfi_b32 v7, 0xffff, v7, v10
	s_delay_alu instid0(VALU_DEP_2)
	v_bfi_b32 v5, 0xffff, v11, v5
	ds_store_b32 v12, v7
	ds_store_b32 v1, v5 offset:6468
	ds_load_b32 v5, v13
	ds_load_b32 v7, v1 offset:5544
	s_wait_dscnt 0x0
	v_pk_add_f16 v10, v5, v7 neg_lo:[0,1] neg_hi:[0,1]
	v_pk_add_f16 v5, v5, v7
	s_delay_alu instid0(VALU_DEP_1) | instskip(SKIP_1) | instid1(VALU_DEP_2)
	v_bfi_b32 v7, 0xffff, v10, v5
	v_bfi_b32 v5, 0xffff, v5, v10
	v_pk_mul_f16 v7, v7, 0.5 op_sel_hi:[1,0]
	s_delay_alu instid0(VALU_DEP_2) | instskip(SKIP_1) | instid1(VALU_DEP_2)
	v_pk_mul_f16 v5, v5, 0.5 op_sel_hi:[1,0]
	s_wait_loadcnt 0x1
	v_pk_mul_f16 v11, v6, v7 op_sel_hi:[0,1]
	s_delay_alu instid0(VALU_DEP_2) | instskip(SKIP_2) | instid1(VALU_DEP_3)
	v_pk_fma_f16 v10, v6, v7, v5 op_sel:[1,0,0]
	v_pk_fma_f16 v12, v6, v7, v5 op_sel:[1,0,0] neg_lo:[1,0,0] neg_hi:[1,0,0]
	v_pk_fma_f16 v5, v6, v7, v5 op_sel:[1,0,0] neg_lo:[0,0,1] neg_hi:[0,0,1]
	v_pk_add_f16 v6, v10, v11 op_sel:[0,1] op_sel_hi:[1,0]
	v_pk_add_f16 v7, v10, v11 op_sel:[0,1] op_sel_hi:[1,0] neg_lo:[0,1] neg_hi:[0,1]
	s_delay_alu instid0(VALU_DEP_4) | instskip(NEXT) | instid1(VALU_DEP_4)
	v_pk_add_f16 v10, v12, v11 op_sel:[0,1] op_sel_hi:[1,0] neg_lo:[0,1] neg_hi:[0,1]
	v_pk_add_f16 v5, v5, v11 op_sel:[0,1] op_sel_hi:[1,0] neg_lo:[0,1] neg_hi:[0,1]
	s_delay_alu instid0(VALU_DEP_3) | instskip(NEXT) | instid1(VALU_DEP_2)
	v_bfi_b32 v6, 0xffff, v6, v7
	v_bfi_b32 v5, 0xffff, v10, v5
	ds_store_b32 v13, v6
	ds_store_b32 v1, v5 offset:5544
	ds_load_b32 v5, v17 offset:2772
	ds_load_b32 v6, v1 offset:4620
	s_wait_dscnt 0x0
	v_pk_add_f16 v7, v5, v6 neg_lo:[0,1] neg_hi:[0,1]
	v_pk_add_f16 v5, v5, v6
	s_delay_alu instid0(VALU_DEP_1) | instskip(SKIP_1) | instid1(VALU_DEP_2)
	v_bfi_b32 v6, 0xffff, v7, v5
	v_bfi_b32 v5, 0xffff, v5, v7
	v_pk_mul_f16 v6, v6, 0.5 op_sel_hi:[1,0]
	s_delay_alu instid0(VALU_DEP_2) | instskip(SKIP_1) | instid1(VALU_DEP_2)
	v_pk_mul_f16 v5, v5, 0.5 op_sel_hi:[1,0]
	s_wait_loadcnt 0x0
	v_pk_mul_f16 v10, v4, v6 op_sel_hi:[0,1]
	s_delay_alu instid0(VALU_DEP_2) | instskip(SKIP_2) | instid1(VALU_DEP_3)
	v_pk_fma_f16 v7, v4, v6, v5 op_sel:[1,0,0]
	v_pk_fma_f16 v11, v4, v6, v5 op_sel:[1,0,0] neg_lo:[1,0,0] neg_hi:[1,0,0]
	v_pk_fma_f16 v4, v4, v6, v5 op_sel:[1,0,0] neg_lo:[0,0,1] neg_hi:[0,0,1]
	v_pk_add_f16 v5, v7, v10 op_sel:[0,1] op_sel_hi:[1,0]
	v_pk_add_f16 v6, v7, v10 op_sel:[0,1] op_sel_hi:[1,0] neg_lo:[0,1] neg_hi:[0,1]
	s_delay_alu instid0(VALU_DEP_4) | instskip(NEXT) | instid1(VALU_DEP_4)
	v_pk_add_f16 v7, v11, v10 op_sel:[0,1] op_sel_hi:[1,0] neg_lo:[0,1] neg_hi:[0,1]
	v_pk_add_f16 v4, v4, v10 op_sel:[0,1] op_sel_hi:[1,0] neg_lo:[0,1] neg_hi:[0,1]
	s_delay_alu instid0(VALU_DEP_3) | instskip(NEXT) | instid1(VALU_DEP_2)
	v_bfi_b32 v5, 0xffff, v5, v6
	v_bfi_b32 v4, 0xffff, v7, v4
	ds_store_b32 v17, v5 offset:2772
	ds_store_b32 v1, v4 offset:4620
	global_wb scope:SCOPE_SE
	s_wait_dscnt 0x0
	s_barrier_signal -1
	s_barrier_wait -1
	global_inv scope:SCOPE_SE
	s_and_saveexec_b32 s0, vcc_lo
	s_cbranch_execz .LBB0_30
; %bb.28:
	v_add_nc_u32_e32 v1, 0x700, v17
	v_add_nc_u32_e32 v10, 0xe40, v17
	;; [unrolled: 1-line block ×3, first 2 shown]
	ds_load_2addr_b32 v[4:5], v17 offset1:231
	ds_load_2addr_b32 v[6:7], v1 offset0:14 offset1:245
	ds_load_2addr_b32 v[10:11], v10 offset0:12 offset1:243
	ds_load_2addr_b32 v[12:13], v12 offset0:10 offset1:241
	v_add_co_u32 v1, vcc_lo, s8, v2
	s_wait_alu 0xfffd
	v_add_co_ci_u32_e32 v2, vcc_lo, s9, v3, vcc_lo
	s_delay_alu instid0(VALU_DEP_2) | instskip(SKIP_1) | instid1(VALU_DEP_2)
	v_add_co_u32 v8, vcc_lo, v1, v8
	s_wait_alu 0xfffd
	v_add_co_ci_u32_e32 v9, vcc_lo, v2, v9, vcc_lo
	v_cmp_eq_u32_e32 vcc_lo, 0xe6, v0
	s_wait_dscnt 0x3
	s_clause 0x1
	global_store_b32 v[8:9], v4, off
	global_store_b32 v[8:9], v5, off offset:924
	s_wait_dscnt 0x2
	s_clause 0x1
	global_store_b32 v[8:9], v6, off offset:1848
	global_store_b32 v[8:9], v7, off offset:2772
	s_wait_dscnt 0x1
	s_clause 0x1
	global_store_b32 v[8:9], v10, off offset:3696
	;; [unrolled: 4-line block ×3, first 2 shown]
	global_store_b32 v[8:9], v13, off offset:6468
	s_and_b32 exec_lo, exec_lo, vcc_lo
	s_cbranch_execz .LBB0_30
; %bb.29:
	v_mov_b32_e32 v0, 0
	ds_load_b32 v0, v0 offset:7392
	s_wait_dscnt 0x0
	global_store_b32 v[1:2], v0, off offset:7392
.LBB0_30:
	s_nop 0
	s_sendmsg sendmsg(MSG_DEALLOC_VGPRS)
	s_endpgm
	.section	.rodata,"a",@progbits
	.p2align	6, 0x0
	.amdhsa_kernel fft_rtc_fwd_len1848_factors_3_11_7_4_2_wgs_231_tpt_231_halfLds_half_ip_CI_unitstride_sbrr_R2C_dirReg
		.amdhsa_group_segment_fixed_size 0
		.amdhsa_private_segment_fixed_size 0
		.amdhsa_kernarg_size 88
		.amdhsa_user_sgpr_count 2
		.amdhsa_user_sgpr_dispatch_ptr 0
		.amdhsa_user_sgpr_queue_ptr 0
		.amdhsa_user_sgpr_kernarg_segment_ptr 1
		.amdhsa_user_sgpr_dispatch_id 0
		.amdhsa_user_sgpr_private_segment_size 0
		.amdhsa_wavefront_size32 1
		.amdhsa_uses_dynamic_stack 0
		.amdhsa_enable_private_segment 0
		.amdhsa_system_sgpr_workgroup_id_x 1
		.amdhsa_system_sgpr_workgroup_id_y 0
		.amdhsa_system_sgpr_workgroup_id_z 0
		.amdhsa_system_sgpr_workgroup_info 0
		.amdhsa_system_vgpr_workitem_id 0
		.amdhsa_next_free_vgpr 119
		.amdhsa_next_free_sgpr 32
		.amdhsa_reserve_vcc 1
		.amdhsa_float_round_mode_32 0
		.amdhsa_float_round_mode_16_64 0
		.amdhsa_float_denorm_mode_32 3
		.amdhsa_float_denorm_mode_16_64 3
		.amdhsa_fp16_overflow 0
		.amdhsa_workgroup_processor_mode 1
		.amdhsa_memory_ordered 1
		.amdhsa_forward_progress 0
		.amdhsa_round_robin_scheduling 0
		.amdhsa_exception_fp_ieee_invalid_op 0
		.amdhsa_exception_fp_denorm_src 0
		.amdhsa_exception_fp_ieee_div_zero 0
		.amdhsa_exception_fp_ieee_overflow 0
		.amdhsa_exception_fp_ieee_underflow 0
		.amdhsa_exception_fp_ieee_inexact 0
		.amdhsa_exception_int_div_zero 0
	.end_amdhsa_kernel
	.text
.Lfunc_end0:
	.size	fft_rtc_fwd_len1848_factors_3_11_7_4_2_wgs_231_tpt_231_halfLds_half_ip_CI_unitstride_sbrr_R2C_dirReg, .Lfunc_end0-fft_rtc_fwd_len1848_factors_3_11_7_4_2_wgs_231_tpt_231_halfLds_half_ip_CI_unitstride_sbrr_R2C_dirReg
                                        ; -- End function
	.section	.AMDGPU.csdata,"",@progbits
; Kernel info:
; codeLenInByte = 9512
; NumSgprs: 34
; NumVgprs: 119
; ScratchSize: 0
; MemoryBound: 0
; FloatMode: 240
; IeeeMode: 1
; LDSByteSize: 0 bytes/workgroup (compile time only)
; SGPRBlocks: 4
; VGPRBlocks: 14
; NumSGPRsForWavesPerEU: 34
; NumVGPRsForWavesPerEU: 119
; Occupancy: 12
; WaveLimiterHint : 1
; COMPUTE_PGM_RSRC2:SCRATCH_EN: 0
; COMPUTE_PGM_RSRC2:USER_SGPR: 2
; COMPUTE_PGM_RSRC2:TRAP_HANDLER: 0
; COMPUTE_PGM_RSRC2:TGID_X_EN: 1
; COMPUTE_PGM_RSRC2:TGID_Y_EN: 0
; COMPUTE_PGM_RSRC2:TGID_Z_EN: 0
; COMPUTE_PGM_RSRC2:TIDIG_COMP_CNT: 0
	.text
	.p2alignl 7, 3214868480
	.fill 96, 4, 3214868480
	.type	__hip_cuid_94fe81d11b3835ac,@object ; @__hip_cuid_94fe81d11b3835ac
	.section	.bss,"aw",@nobits
	.globl	__hip_cuid_94fe81d11b3835ac
__hip_cuid_94fe81d11b3835ac:
	.byte	0                               ; 0x0
	.size	__hip_cuid_94fe81d11b3835ac, 1

	.ident	"AMD clang version 19.0.0git (https://github.com/RadeonOpenCompute/llvm-project roc-6.4.0 25133 c7fe45cf4b819c5991fe208aaa96edf142730f1d)"
	.section	".note.GNU-stack","",@progbits
	.addrsig
	.addrsig_sym __hip_cuid_94fe81d11b3835ac
	.amdgpu_metadata
---
amdhsa.kernels:
  - .args:
      - .actual_access:  read_only
        .address_space:  global
        .offset:         0
        .size:           8
        .value_kind:     global_buffer
      - .offset:         8
        .size:           8
        .value_kind:     by_value
      - .actual_access:  read_only
        .address_space:  global
        .offset:         16
        .size:           8
        .value_kind:     global_buffer
      - .actual_access:  read_only
        .address_space:  global
        .offset:         24
        .size:           8
        .value_kind:     global_buffer
      - .offset:         32
        .size:           8
        .value_kind:     by_value
      - .actual_access:  read_only
        .address_space:  global
        .offset:         40
        .size:           8
        .value_kind:     global_buffer
      - .actual_access:  read_only
        .address_space:  global
        .offset:         48
        .size:           8
        .value_kind:     global_buffer
      - .offset:         56
        .size:           4
        .value_kind:     by_value
      - .actual_access:  read_only
        .address_space:  global
        .offset:         64
        .size:           8
        .value_kind:     global_buffer
      - .actual_access:  read_only
        .address_space:  global
        .offset:         72
        .size:           8
        .value_kind:     global_buffer
      - .address_space:  global
        .offset:         80
        .size:           8
        .value_kind:     global_buffer
    .group_segment_fixed_size: 0
    .kernarg_segment_align: 8
    .kernarg_segment_size: 88
    .language:       OpenCL C
    .language_version:
      - 2
      - 0
    .max_flat_workgroup_size: 231
    .name:           fft_rtc_fwd_len1848_factors_3_11_7_4_2_wgs_231_tpt_231_halfLds_half_ip_CI_unitstride_sbrr_R2C_dirReg
    .private_segment_fixed_size: 0
    .sgpr_count:     34
    .sgpr_spill_count: 0
    .symbol:         fft_rtc_fwd_len1848_factors_3_11_7_4_2_wgs_231_tpt_231_halfLds_half_ip_CI_unitstride_sbrr_R2C_dirReg.kd
    .uniform_work_group_size: 1
    .uses_dynamic_stack: false
    .vgpr_count:     119
    .vgpr_spill_count: 0
    .wavefront_size: 32
    .workgroup_processor_mode: 1
amdhsa.target:   amdgcn-amd-amdhsa--gfx1201
amdhsa.version:
  - 1
  - 2
...

	.end_amdgpu_metadata
